;; amdgpu-corpus repo=ROCm/rocFFT kind=compiled arch=gfx906 opt=O3
	.text
	.amdgcn_target "amdgcn-amd-amdhsa--gfx906"
	.amdhsa_code_object_version 6
	.protected	fft_rtc_fwd_len84_factors_7_2_6_wgs_120_tpt_12_halfLds_half_op_CI_CI_unitstride_sbrr_R2C_dirReg ; -- Begin function fft_rtc_fwd_len84_factors_7_2_6_wgs_120_tpt_12_halfLds_half_op_CI_CI_unitstride_sbrr_R2C_dirReg
	.globl	fft_rtc_fwd_len84_factors_7_2_6_wgs_120_tpt_12_halfLds_half_op_CI_CI_unitstride_sbrr_R2C_dirReg
	.p2align	8
	.type	fft_rtc_fwd_len84_factors_7_2_6_wgs_120_tpt_12_halfLds_half_op_CI_CI_unitstride_sbrr_R2C_dirReg,@function
fft_rtc_fwd_len84_factors_7_2_6_wgs_120_tpt_12_halfLds_half_op_CI_CI_unitstride_sbrr_R2C_dirReg: ; @fft_rtc_fwd_len84_factors_7_2_6_wgs_120_tpt_12_halfLds_half_op_CI_CI_unitstride_sbrr_R2C_dirReg
; %bb.0:
	v_mul_u32_u24_e32 v1, 0x1556, v0
	s_load_dwordx4 s[8:11], s[4:5], 0x58
	s_load_dwordx4 s[12:15], s[4:5], 0x0
	;; [unrolled: 1-line block ×3, first 2 shown]
	v_lshrrev_b32_e32 v1, 16, v1
	v_mad_u64_u32 v[5:6], s[0:1], s6, 10, v[1:2]
	v_mov_b32_e32 v7, 0
	s_waitcnt lgkmcnt(0)
	v_cmp_lt_u64_e64 s[0:1], s[14:15], 2
	v_mov_b32_e32 v11, 0
	v_mov_b32_e32 v6, v7
	;; [unrolled: 1-line block ×5, first 2 shown]
	s_and_b64 vcc, exec, s[0:1]
	v_mov_b32_e32 v2, v12
	v_mov_b32_e32 v4, v6
	s_cbranch_vccnz .LBB0_8
; %bb.1:
	s_load_dwordx2 s[0:1], s[4:5], 0x10
	s_add_u32 s2, s18, 8
	s_addc_u32 s3, s19, 0
	s_add_u32 s6, s16, 8
	s_addc_u32 s7, s17, 0
	v_mov_b32_e32 v11, 0
	s_waitcnt lgkmcnt(0)
	s_add_u32 s20, s0, 8
	v_mov_b32_e32 v12, 0
	v_mov_b32_e32 v1, v11
	;; [unrolled: 1-line block ×3, first 2 shown]
	s_addc_u32 s21, s1, 0
	s_mov_b64 s[22:23], 1
	v_mov_b32_e32 v2, v12
	v_mov_b32_e32 v9, v5
.LBB0_2:                                ; =>This Inner Loop Header: Depth=1
	s_load_dwordx2 s[24:25], s[20:21], 0x0
                                        ; implicit-def: $vgpr3_vgpr4
	s_waitcnt lgkmcnt(0)
	v_or_b32_e32 v8, s25, v10
	v_cmp_ne_u64_e32 vcc, 0, v[7:8]
	s_and_saveexec_b64 s[0:1], vcc
	s_xor_b64 s[26:27], exec, s[0:1]
	s_cbranch_execz .LBB0_4
; %bb.3:                                ;   in Loop: Header=BB0_2 Depth=1
	v_cvt_f32_u32_e32 v3, s24
	v_cvt_f32_u32_e32 v4, s25
	s_sub_u32 s0, 0, s24
	s_subb_u32 s1, 0, s25
	v_mac_f32_e32 v3, 0x4f800000, v4
	v_rcp_f32_e32 v3, v3
	v_mul_f32_e32 v3, 0x5f7ffffc, v3
	v_mul_f32_e32 v4, 0x2f800000, v3
	v_trunc_f32_e32 v4, v4
	v_mac_f32_e32 v3, 0xcf800000, v4
	v_cvt_u32_f32_e32 v4, v4
	v_cvt_u32_f32_e32 v3, v3
	v_mul_lo_u32 v6, s0, v4
	v_mul_hi_u32 v8, s0, v3
	v_mul_lo_u32 v14, s1, v3
	v_mul_lo_u32 v13, s0, v3
	v_add_u32_e32 v6, v8, v6
	v_add_u32_e32 v6, v6, v14
	v_mul_hi_u32 v8, v3, v13
	v_mul_lo_u32 v14, v3, v6
	v_mul_hi_u32 v16, v3, v6
	v_mul_hi_u32 v15, v4, v13
	v_mul_lo_u32 v13, v4, v13
	v_mul_hi_u32 v17, v4, v6
	v_add_co_u32_e32 v8, vcc, v8, v14
	v_addc_co_u32_e32 v14, vcc, 0, v16, vcc
	v_mul_lo_u32 v6, v4, v6
	v_add_co_u32_e32 v8, vcc, v8, v13
	v_addc_co_u32_e32 v8, vcc, v14, v15, vcc
	v_addc_co_u32_e32 v13, vcc, 0, v17, vcc
	v_add_co_u32_e32 v6, vcc, v8, v6
	v_addc_co_u32_e32 v8, vcc, 0, v13, vcc
	v_add_co_u32_e32 v3, vcc, v3, v6
	v_addc_co_u32_e32 v4, vcc, v4, v8, vcc
	v_mul_lo_u32 v6, s0, v4
	v_mul_hi_u32 v8, s0, v3
	v_mul_lo_u32 v13, s1, v3
	v_mul_lo_u32 v14, s0, v3
	v_add_u32_e32 v6, v8, v6
	v_add_u32_e32 v6, v6, v13
	v_mul_lo_u32 v15, v3, v6
	v_mul_hi_u32 v16, v3, v14
	v_mul_hi_u32 v17, v3, v6
	;; [unrolled: 1-line block ×3, first 2 shown]
	v_mul_lo_u32 v14, v4, v14
	v_mul_hi_u32 v8, v4, v6
	v_add_co_u32_e32 v15, vcc, v16, v15
	v_addc_co_u32_e32 v16, vcc, 0, v17, vcc
	v_mul_lo_u32 v6, v4, v6
	v_add_co_u32_e32 v14, vcc, v15, v14
	v_addc_co_u32_e32 v13, vcc, v16, v13, vcc
	v_addc_co_u32_e32 v8, vcc, 0, v8, vcc
	v_add_co_u32_e32 v6, vcc, v13, v6
	v_addc_co_u32_e32 v8, vcc, 0, v8, vcc
	v_add_co_u32_e32 v6, vcc, v3, v6
	v_addc_co_u32_e32 v8, vcc, v4, v8, vcc
	v_mad_u64_u32 v[3:4], s[0:1], v9, v8, 0
	v_mul_hi_u32 v13, v9, v6
	v_add_co_u32_e32 v15, vcc, v13, v3
	v_addc_co_u32_e32 v16, vcc, 0, v4, vcc
	v_mad_u64_u32 v[3:4], s[0:1], v10, v6, 0
	v_mad_u64_u32 v[13:14], s[0:1], v10, v8, 0
	v_add_co_u32_e32 v3, vcc, v15, v3
	v_addc_co_u32_e32 v3, vcc, v16, v4, vcc
	v_addc_co_u32_e32 v4, vcc, 0, v14, vcc
	v_add_co_u32_e32 v6, vcc, v3, v13
	v_addc_co_u32_e32 v8, vcc, 0, v4, vcc
	v_mul_lo_u32 v13, s25, v6
	v_mul_lo_u32 v14, s24, v8
	v_mad_u64_u32 v[3:4], s[0:1], s24, v6, 0
	v_add3_u32 v4, v4, v14, v13
	v_sub_u32_e32 v13, v10, v4
	v_mov_b32_e32 v14, s25
	v_sub_co_u32_e32 v3, vcc, v9, v3
	v_subb_co_u32_e64 v13, s[0:1], v13, v14, vcc
	v_subrev_co_u32_e64 v14, s[0:1], s24, v3
	v_subbrev_co_u32_e64 v13, s[0:1], 0, v13, s[0:1]
	v_cmp_le_u32_e64 s[0:1], s25, v13
	v_cndmask_b32_e64 v15, 0, -1, s[0:1]
	v_cmp_le_u32_e64 s[0:1], s24, v14
	v_cndmask_b32_e64 v14, 0, -1, s[0:1]
	v_cmp_eq_u32_e64 s[0:1], s25, v13
	v_cndmask_b32_e64 v13, v15, v14, s[0:1]
	v_add_co_u32_e64 v14, s[0:1], 2, v6
	v_addc_co_u32_e64 v15, s[0:1], 0, v8, s[0:1]
	v_add_co_u32_e64 v16, s[0:1], 1, v6
	v_addc_co_u32_e64 v17, s[0:1], 0, v8, s[0:1]
	v_subb_co_u32_e32 v4, vcc, v10, v4, vcc
	v_cmp_ne_u32_e64 s[0:1], 0, v13
	v_cmp_le_u32_e32 vcc, s25, v4
	v_cndmask_b32_e64 v13, v17, v15, s[0:1]
	v_cndmask_b32_e64 v15, 0, -1, vcc
	v_cmp_le_u32_e32 vcc, s24, v3
	v_cndmask_b32_e64 v3, 0, -1, vcc
	v_cmp_eq_u32_e32 vcc, s25, v4
	v_cndmask_b32_e32 v3, v15, v3, vcc
	v_cmp_ne_u32_e32 vcc, 0, v3
	v_cndmask_b32_e64 v3, v16, v14, s[0:1]
	v_cndmask_b32_e32 v4, v8, v13, vcc
	v_cndmask_b32_e32 v3, v6, v3, vcc
.LBB0_4:                                ;   in Loop: Header=BB0_2 Depth=1
	s_andn2_saveexec_b64 s[0:1], s[26:27]
	s_cbranch_execz .LBB0_6
; %bb.5:                                ;   in Loop: Header=BB0_2 Depth=1
	v_cvt_f32_u32_e32 v3, s24
	s_sub_i32 s26, 0, s24
	v_rcp_iflag_f32_e32 v3, v3
	v_mul_f32_e32 v3, 0x4f7ffffe, v3
	v_cvt_u32_f32_e32 v3, v3
	v_mul_lo_u32 v4, s26, v3
	v_mul_hi_u32 v4, v3, v4
	v_add_u32_e32 v3, v3, v4
	v_mul_hi_u32 v3, v9, v3
	v_mul_lo_u32 v4, v3, s24
	v_add_u32_e32 v6, 1, v3
	v_sub_u32_e32 v4, v9, v4
	v_subrev_u32_e32 v8, s24, v4
	v_cmp_le_u32_e32 vcc, s24, v4
	v_cndmask_b32_e32 v4, v4, v8, vcc
	v_cndmask_b32_e32 v3, v3, v6, vcc
	v_add_u32_e32 v6, 1, v3
	v_cmp_le_u32_e32 vcc, s24, v4
	v_cndmask_b32_e32 v3, v3, v6, vcc
	v_mov_b32_e32 v4, v7
.LBB0_6:                                ;   in Loop: Header=BB0_2 Depth=1
	s_or_b64 exec, exec, s[0:1]
	v_mul_lo_u32 v6, v4, s24
	v_mul_lo_u32 v8, v3, s25
	v_mad_u64_u32 v[13:14], s[0:1], v3, s24, 0
	s_load_dwordx2 s[0:1], s[6:7], 0x0
	s_load_dwordx2 s[24:25], s[2:3], 0x0
	v_add3_u32 v6, v14, v8, v6
	v_sub_co_u32_e32 v8, vcc, v9, v13
	v_subb_co_u32_e32 v6, vcc, v10, v6, vcc
	s_waitcnt lgkmcnt(0)
	v_mul_lo_u32 v9, s0, v6
	v_mul_lo_u32 v10, s1, v8
	v_mad_u64_u32 v[11:12], s[0:1], s0, v8, v[11:12]
	s_add_u32 s22, s22, 1
	s_addc_u32 s23, s23, 0
	s_add_u32 s2, s2, 8
	v_mul_lo_u32 v6, s24, v6
	v_mul_lo_u32 v13, s25, v8
	v_mad_u64_u32 v[1:2], s[0:1], s24, v8, v[1:2]
	v_add3_u32 v12, v10, v12, v9
	s_addc_u32 s3, s3, 0
	v_mov_b32_e32 v8, s14
	s_add_u32 s6, s6, 8
	v_mov_b32_e32 v9, s15
	s_addc_u32 s7, s7, 0
	v_cmp_ge_u64_e32 vcc, s[22:23], v[8:9]
	s_add_u32 s20, s20, 8
	v_add3_u32 v2, v13, v2, v6
	s_addc_u32 s21, s21, 0
	s_cbranch_vccnz .LBB0_8
; %bb.7:                                ;   in Loop: Header=BB0_2 Depth=1
	v_mov_b32_e32 v10, v4
	v_mov_b32_e32 v9, v3
	s_branch .LBB0_2
.LBB0_8:
	s_mov_b32 s0, 0xcccccccd
	v_mul_hi_u32 v6, v5, s0
	s_load_dwordx2 s[0:1], s[4:5], 0x28
	s_lshl_b64 s[6:7], s[14:15], 3
	s_add_u32 s2, s18, s6
	v_lshrrev_b32_e32 v6, 3, v6
	v_mul_lo_u32 v6, v6, 10
	s_waitcnt lgkmcnt(0)
	v_cmp_gt_u64_e32 vcc, s[0:1], v[3:4]
	v_cmp_le_u64_e64 s[0:1], s[0:1], v[3:4]
	s_addc_u32 s3, s19, s7
	v_sub_u32_e32 v6, v5, v6
                                        ; implicit-def: $vgpr5
                                        ; implicit-def: $vgpr8
                                        ; implicit-def: $vgpr10
                                        ; implicit-def: $vgpr7
	s_and_saveexec_b64 s[4:5], s[0:1]
	s_xor_b64 s[0:1], exec, s[4:5]
; %bb.9:
	s_mov_b32 s4, 0x15555556
	v_mul_hi_u32 v5, v0, s4
                                        ; implicit-def: $vgpr11_vgpr12
	v_mul_u32_u24_e32 v5, 12, v5
	v_sub_u32_e32 v5, v0, v5
	v_add_u32_e32 v8, 12, v5
	v_add_u32_e32 v10, 24, v5
	;; [unrolled: 1-line block ×3, first 2 shown]
                                        ; implicit-def: $vgpr0
; %bb.10:
	s_or_saveexec_b64 s[4:5], s[0:1]
	v_mul_u32_u24_e32 v6, 0x55, v6
	v_lshlrev_b32_e32 v13, 2, v6
	s_xor_b64 exec, exec, s[4:5]
	s_cbranch_execz .LBB0_12
; %bb.11:
	s_add_u32 s0, s16, s6
	s_addc_u32 s1, s17, s7
	s_load_dwordx2 s[0:1], s[0:1], 0x0
	s_mov_b32 s6, 0x15555556
	v_mul_hi_u32 v5, v0, s6
	s_waitcnt lgkmcnt(0)
	v_mul_lo_u32 v8, s1, v3
	v_mul_lo_u32 v9, s0, v4
	v_mad_u64_u32 v[6:7], s[0:1], s0, v3, 0
	v_mul_u32_u24_e32 v5, 12, v5
	v_sub_u32_e32 v5, v0, v5
	v_add3_u32 v7, v7, v9, v8
	v_lshlrev_b64 v[6:7], 2, v[6:7]
	v_mov_b32_e32 v0, s9
	v_add_co_u32_e64 v8, s[0:1], s8, v6
	v_addc_co_u32_e64 v0, s[0:1], v0, v7, s[0:1]
	v_lshlrev_b64 v[6:7], 2, v[11:12]
	v_lshlrev_b32_e32 v9, 2, v5
	v_add_co_u32_e64 v6, s[0:1], v8, v6
	v_addc_co_u32_e64 v0, s[0:1], v0, v7, s[0:1]
	v_add_co_u32_e64 v6, s[0:1], v6, v9
	v_addc_co_u32_e64 v7, s[0:1], 0, v0, s[0:1]
	global_load_dword v0, v[6:7], off
	global_load_dword v11, v[6:7], off offset:48
	global_load_dword v12, v[6:7], off offset:96
	;; [unrolled: 1-line block ×6, first 2 shown]
	v_add_u32_e32 v8, 12, v5
	v_add_u32_e32 v10, 24, v5
	;; [unrolled: 1-line block ×3, first 2 shown]
	v_add3_u32 v6, 0, v13, v9
	s_waitcnt vmcnt(5)
	ds_write2_b32 v6, v0, v11 offset1:12
	s_waitcnt vmcnt(3)
	ds_write2_b32 v6, v12, v14 offset0:24 offset1:36
	s_waitcnt vmcnt(1)
	ds_write2_b32 v6, v15, v16 offset0:48 offset1:60
	s_waitcnt vmcnt(0)
	ds_write_b32 v6, v17 offset:288
.LBB0_12:
	s_or_b64 exec, exec, s[4:5]
	v_lshlrev_b32_e32 v6, 2, v5
	v_add3_u32 v9, 0, v6, v13
	s_load_dwordx2 s[4:5], s[2:3], 0x0
	s_waitcnt lgkmcnt(0)
	s_barrier
	ds_read2_b32 v[11:12], v9 offset0:12 offset1:24
	ds_read2_b32 v[14:15], v9 offset0:60 offset1:72
	v_add_u32_e32 v0, 0, v13
	ds_read2_b32 v[16:17], v9 offset0:36 offset1:48
	v_add_u32_e32 v19, v0, v6
	ds_read_b32 v20, v19
	s_waitcnt lgkmcnt(2)
	v_pk_add_f16 v21, v11, v15
	v_pk_add_f16 v22, v12, v14
	s_waitcnt lgkmcnt(1)
	v_pk_add_f16 v23, v16, v17
	v_pk_add_f16 v24, v22, v21
	v_pk_add_f16 v11, v11, v15 neg_lo:[0,1] neg_hi:[0,1]
	v_pk_add_f16 v12, v12, v14 neg_lo:[0,1] neg_hi:[0,1]
	v_pk_add_f16 v24, v23, v24
	v_pk_add_f16 v14, v17, v16 neg_lo:[0,1] neg_hi:[0,1]
	v_pk_add_f16 v16, v21, v23 neg_lo:[0,1] neg_hi:[0,1]
	;; [unrolled: 1-line block ×3, first 2 shown]
	s_movk_i32 s0, 0x3a52
	s_movk_i32 s1, 0x3b00
	s_waitcnt lgkmcnt(0)
	v_pk_add_f16 v20, v20, v24
	v_pk_add_f16 v15, v22, v21 neg_lo:[0,1] neg_hi:[0,1]
	v_pk_mul_f16 v16, v16, s0 op_sel_hi:[1,0]
	s_movk_i32 s0, 0x39e0
	v_pk_mul_f16 v25, v25, s1 op_sel_hi:[1,0]
	s_mov_b32 s1, 0xbcab
	v_pk_add_f16 v17, v14, v12
	v_pk_add_f16 v21, v11, v14 neg_lo:[0,1] neg_hi:[0,1]
	v_pk_mul_f16 v15, v15, s0 op_sel_hi:[1,0]
	s_movk_i32 s0, 0x3574
	v_pk_fma_f16 v24, v24, s1, v20 op_sel_hi:[1,0,1]
	v_pk_add_f16 v22, v23, v22 neg_lo:[0,1] neg_hi:[0,1]
	v_pk_add_f16 v12, v14, v12 neg_lo:[0,1] neg_hi:[0,1]
	s_movk_i32 s1, 0x2b26
	s_mov_b32 s2, 0xb846
	v_pk_add_f16 v11, v17, v11
	v_pk_mul_f16 v17, v21, s0 op_sel_hi:[1,0]
	v_pk_add_f16 v26, v16, v15 op_sel:[1,1] op_sel_hi:[0,0] neg_lo:[1,1] neg_hi:[1,1]
	v_pk_fma_f16 v21, v21, s0, v25 op_sel_hi:[1,0,1] neg_lo:[1,0,1] neg_hi:[1,0,1]
	s_movk_i32 s0, 0x370e
	v_pk_fma_f16 v14, v22, s1, v15 op_sel_hi:[1,0,1] neg_lo:[1,0,0] neg_hi:[1,0,0]
	v_pk_fma_f16 v15, v12, s2, v25 op_sel_hi:[1,0,1] neg_lo:[1,0,0] neg_hi:[1,0,0]
	v_pk_add_f16 v26, v26, v24 op_sel:[0,1] op_sel_hi:[1,0]
	v_pk_fma_f16 v21, v11, s0, v21 op_sel_hi:[1,0,1]
	v_pk_add_f16 v14, v14, v24
	v_pk_fma_f16 v15, v11, s0, v15 op_sel_hi:[1,0,1]
	v_pk_add_f16 v27, v26, v21
	v_pk_add_f16 v21, v26, v21 neg_lo:[0,1] neg_hi:[0,1]
	v_pk_add_f16 v23, v14, v15 op_sel:[0,1] op_sel_hi:[1,0] neg_lo:[0,1] neg_hi:[0,1]
	v_pk_add_f16 v14, v14, v15 op_sel:[0,1] op_sel_hi:[1,0]
	s_mov_b32 s6, 0xffff
	v_mad_u32_u24 v18, v5, 24, v9
	v_alignbit_b32 v26, v21, v27, 16
	v_bfi_b32 v15, s6, v23, v14
	s_barrier
	ds_write2_b32 v18, v26, v15 offset0:2 offset1:3
	v_bfi_b32 v14, s6, v14, v23
	v_alignbit_b32 v15, v27, v21, 16
	ds_write2_b32 v18, v14, v15 offset0:4 offset1:5
	v_pk_fma_f16 v14, v22, s1, v16 op_sel_hi:[1,0,1]
	v_pk_fma_f16 v12, v12, s2, v17 op_sel_hi:[1,0,1]
	v_pk_add_f16 v14, v14, v24
	v_pk_fma_f16 v11, v11, s0, v12 op_sel_hi:[1,0,1]
	v_pk_add_f16 v22, v14, v11 op_sel:[0,1] op_sel_hi:[1,0]
	v_pk_add_f16 v14, v14, v11 op_sel:[0,1] op_sel_hi:[1,0] neg_lo:[0,1] neg_hi:[0,1]
	v_bfi_b32 v12, s6, v22, v14
	v_bfi_b32 v11, s6, v14, v22
	ds_write2_b32 v18, v20, v12 offset1:1
	ds_write_b32 v18, v11 offset:24
	v_lshl_add_u32 v20, v10, 2, v0
	s_waitcnt lgkmcnt(0)
	s_barrier
	ds_read_b32 v18, v19
	ds_read2_b32 v[11:12], v9 offset0:42 offset1:54
	v_lshl_add_u32 v21, v8, 2, v0
	ds_read_b32 v16, v20
	ds_read_b32 v15, v21
	ds_read_b32 v17, v9 offset:264
	v_cmp_gt_u32_e64 s[0:1], 6, v5
	v_lshrrev_b32_e32 v23, 16, v22
                                        ; implicit-def: $vgpr24
                                        ; implicit-def: $vgpr22
	s_and_saveexec_b64 s[2:3], s[0:1]
	s_cbranch_execz .LBB0_14
; %bb.13:
	v_lshlrev_b32_e32 v14, 2, v7
	v_add3_u32 v14, 0, v14, v13
	ds_read_b32 v14, v14
	ds_read_b32 v22, v9 offset:312
	s_waitcnt lgkmcnt(1)
	v_lshrrev_b32_e32 v23, 16, v14
	s_waitcnt lgkmcnt(0)
	v_lshrrev_b32_e32 v24, 16, v22
.LBB0_14:
	s_or_b64 exec, exec, s[2:3]
	v_add_u32_e32 v25, -7, v5
	v_cmp_gt_u32_e64 s[2:3], 7, v5
	v_cndmask_b32_e64 v26, v25, v5, s[2:3]
	v_mov_b32_e32 v27, 0
	v_lshlrev_b64 v[27:28], 2, v[26:27]
	v_mov_b32_e32 v25, s13
	v_add_co_u32_e64 v27, s[2:3], s12, v27
	v_addc_co_u32_e64 v28, s[2:3], v25, v28, s[2:3]
	v_mov_b32_e32 v25, 37
	global_load_dword v27, v[27:28], off
	v_mul_lo_u16_sdwa v28, v10, v25 dst_sel:DWORD dst_unused:UNUSED_PAD src0_sel:BYTE_0 src1_sel:DWORD
	v_sub_u16_sdwa v32, v10, v28 dst_sel:DWORD dst_unused:UNUSED_PAD src0_sel:DWORD src1_sel:BYTE_1
	v_lshrrev_b16_e32 v32, 1, v32
	v_mul_lo_u16_sdwa v29, v8, v25 dst_sel:DWORD dst_unused:UNUSED_PAD src0_sel:BYTE_0 src1_sel:DWORD
	v_mul_lo_u16_sdwa v25, v7, v25 dst_sel:DWORD dst_unused:UNUSED_PAD src0_sel:BYTE_0 src1_sel:DWORD
	v_and_b32_e32 v32, 0x7f, v32
	v_sub_u16_sdwa v30, v8, v29 dst_sel:DWORD dst_unused:UNUSED_PAD src0_sel:DWORD src1_sel:BYTE_1
	v_add_u16_sdwa v28, v32, v28 dst_sel:DWORD dst_unused:UNUSED_PAD src0_sel:DWORD src1_sel:BYTE_1
	v_sub_u16_sdwa v32, v7, v25 dst_sel:DWORD dst_unused:UNUSED_PAD src0_sel:DWORD src1_sel:BYTE_1
	v_lshrrev_b16_e32 v30, 1, v30
	v_lshrrev_b16_e32 v32, 1, v32
	v_and_b32_e32 v30, 0x7f, v30
	v_and_b32_e32 v32, 0x7f, v32
	v_add_u16_sdwa v29, v30, v29 dst_sel:DWORD dst_unused:UNUSED_PAD src0_sel:DWORD src1_sel:BYTE_1
	v_add_u16_sdwa v25, v32, v25 dst_sel:DWORD dst_unused:UNUSED_PAD src0_sel:DWORD src1_sel:BYTE_1
	v_lshrrev_b16_e32 v29, 2, v29
	v_lshrrev_b16_e32 v28, 2, v28
	;; [unrolled: 1-line block ×3, first 2 shown]
	v_mul_lo_u16_e32 v30, 7, v29
	v_mul_lo_u16_e32 v32, 7, v28
	v_mul_lo_u16_e32 v25, 7, v25
	v_sub_u16_e32 v30, v8, v30
	v_mov_b32_e32 v31, 2
	v_sub_u16_e32 v32, v10, v32
	v_sub_u16_e32 v25, v7, v25
	v_lshlrev_b32_sdwa v30, v31, v30 dst_sel:DWORD dst_unused:UNUSED_PAD src0_sel:DWORD src1_sel:BYTE_0
	v_lshlrev_b32_sdwa v25, v31, v25 dst_sel:DWORD dst_unused:UNUSED_PAD src0_sel:DWORD src1_sel:BYTE_0
	;; [unrolled: 1-line block ×3, first 2 shown]
	global_load_dword v32, v31, s[12:13]
	global_load_dword v33, v30, s[12:13]
	;; [unrolled: 1-line block ×3, first 2 shown]
	v_mad_u32_u24 v29, v29, 56, 0
	v_mad_u32_u24 v28, v28, 56, 0
	v_add3_u32 v29, v29, v30, v13
	v_cmp_lt_u32_e64 s[2:3], 6, v5
	v_add3_u32 v28, v28, v31, v13
	v_cndmask_b32_e64 v35, 0, 56, s[2:3]
	v_add_u32_e32 v35, 0, v35
	v_lshlrev_b32_e32 v26, 2, v26
	v_add3_u32 v26, v35, v26, v13
	s_waitcnt vmcnt(0) lgkmcnt(0)
	s_barrier
	v_pk_mul_f16 v30, v27, v11 op_sel:[0,1]
	v_pk_fma_f16 v31, v27, v11, v30 op_sel:[0,0,1] op_sel_hi:[1,1,0] neg_lo:[0,0,1] neg_hi:[0,0,1]
	v_pk_fma_f16 v11, v27, v11, v30 op_sel:[0,0,1] op_sel_hi:[1,0,0]
	v_bfi_b32 v11, s6, v31, v11
	v_pk_add_f16 v11, v18, v11 neg_lo:[0,1] neg_hi:[0,1]
	v_pk_fma_f16 v18, v18, 2.0, v11 op_sel_hi:[1,0,1] neg_lo:[0,0,1] neg_hi:[0,0,1]
	ds_write2_b32 v26, v18, v11 offset1:7
	v_pk_mul_f16 v35, v32, v17 op_sel:[0,1]
	v_pk_mul_f16 v27, v33, v12 op_sel:[0,1]
	v_mul_f16_sdwa v30, v24, v34 dst_sel:DWORD dst_unused:UNUSED_PAD src0_sel:DWORD src1_sel:WORD_1
	v_mul_f16_sdwa v31, v22, v34 dst_sel:DWORD dst_unused:UNUSED_PAD src0_sel:DWORD src1_sel:WORD_1
	v_pk_fma_f16 v18, v33, v12, v27 op_sel:[0,0,1] op_sel_hi:[1,1,0] neg_lo:[0,0,1] neg_hi:[0,0,1]
	v_pk_fma_f16 v12, v33, v12, v27 op_sel:[0,0,1] op_sel_hi:[1,0,0]
	v_fma_f16 v11, v22, v34, -v30
	v_fma_f16 v22, v24, v34, v31
	v_pk_fma_f16 v26, v32, v17, v35 op_sel:[0,0,1] op_sel_hi:[1,1,0] neg_lo:[0,0,1] neg_hi:[0,0,1]
	v_pk_fma_f16 v17, v32, v17, v35 op_sel:[0,0,1] op_sel_hi:[1,0,0]
	v_bfi_b32 v12, s6, v18, v12
	v_sub_f16_e32 v11, v14, v11
	v_sub_f16_e32 v24, v23, v22
	v_bfi_b32 v17, s6, v26, v17
	v_pk_add_f16 v12, v15, v12 neg_lo:[0,1] neg_hi:[0,1]
	v_fma_f16 v22, v14, 2.0, -v11
	v_fma_f16 v23, v23, 2.0, -v24
	v_pk_add_f16 v14, v16, v17 neg_lo:[0,1] neg_hi:[0,1]
	v_pk_fma_f16 v15, v15, 2.0, v12 op_sel_hi:[1,0,1] neg_lo:[0,0,1] neg_hi:[0,0,1]
	v_pk_fma_f16 v16, v16, 2.0, v14 op_sel_hi:[1,0,1] neg_lo:[0,0,1] neg_hi:[0,0,1]
	ds_write2_b32 v29, v15, v12 offset1:7
	ds_write2_b32 v28, v16, v14 offset1:7
	s_and_saveexec_b64 s[2:3], s[0:1]
	s_cbranch_execz .LBB0_16
; %bb.15:
	s_mov_b32 s6, 0x5040100
	v_add3_u32 v12, 0, v25, v13
	v_perm_b32 v13, v23, v22, s6
	v_perm_b32 v14, v24, v11, s6
	ds_write2_b32 v12, v13, v14 offset0:70 offset1:77
.LBB0_16:
	s_or_b64 exec, exec, s[2:3]
	s_waitcnt lgkmcnt(0)
	s_barrier
	ds_read2_b32 v[17:18], v9 offset0:14 offset1:28
	ds_read2_b32 v[15:16], v9 offset0:42 offset1:56
	ds_read_b32 v30, v19
	ds_read_b32 v31, v9 offset:280
	v_cmp_gt_u32_e64 s[2:3], 2, v5
                                        ; implicit-def: $vgpr26
                                        ; implicit-def: $vgpr25
                                        ; implicit-def: $vgpr28
                                        ; implicit-def: $vgpr14
                                        ; implicit-def: $vgpr27
                                        ; implicit-def: $vgpr29
	s_and_saveexec_b64 s[6:7], s[2:3]
	s_cbranch_execz .LBB0_18
; %bb.17:
	ds_read_b32 v22, v21
	ds_read2_b32 v[13:14], v9 offset0:54 offset1:68
	ds_read_b32 v25, v9 offset:328
	ds_read2_b32 v[11:12], v9 offset0:26 offset1:40
	s_waitcnt lgkmcnt(3)
	v_lshrrev_b32_e32 v23, 16, v22
	s_waitcnt lgkmcnt(2)
	v_lshrrev_b32_e32 v27, 16, v13
	v_lshrrev_b32_e32 v28, 16, v14
	s_waitcnt lgkmcnt(1)
	v_lshrrev_b32_e32 v26, 16, v25
	s_waitcnt lgkmcnt(0)
	v_lshrrev_b32_e32 v24, 16, v11
	v_lshrrev_b32_e32 v29, 16, v12
.LBB0_18:
	s_or_b64 exec, exec, s[6:7]
	v_mul_u32_u24_e32 v32, 5, v5
	v_lshlrev_b32_e32 v36, 2, v32
	global_load_dwordx4 v[32:35], v36, s[12:13] offset:28
	global_load_dword v37, v36, s[12:13] offset:44
	s_waitcnt lgkmcnt(0)
	v_lshrrev_b32_e32 v38, 16, v31
	v_lshrrev_b32_e32 v39, 16, v16
	;; [unrolled: 1-line block ×6, first 2 shown]
	s_movk_i32 s8, 0x3aee
	s_mov_b32 s9, 0xbaee
	s_waitcnt vmcnt(0)
	s_barrier
	v_mul_f16_sdwa v43, v32, v42 dst_sel:DWORD dst_unused:UNUSED_PAD src0_sel:WORD_1 src1_sel:DWORD
	v_mul_f16_sdwa v44, v32, v17 dst_sel:DWORD dst_unused:UNUSED_PAD src0_sel:WORD_1 src1_sel:DWORD
	;; [unrolled: 1-line block ×10, first 2 shown]
	v_fma_f16 v17, v32, v17, -v43
	v_fma_f16 v32, v32, v42, v44
	v_fma_f16 v18, v33, v18, -v45
	v_fma_f16 v33, v33, v41, v46
	;; [unrolled: 2-line block ×5, first 2 shown]
	v_sub_f16_e32 v40, v33, v35
	v_add_f16_e32 v41, v36, v33
	v_add_f16_e32 v33, v33, v35
	;; [unrolled: 1-line block ×3, first 2 shown]
	v_sub_f16_e32 v44, v34, v37
	v_add_f16_e32 v45, v32, v34
	v_add_f16_e32 v34, v34, v37
	;; [unrolled: 1-line block ×4, first 2 shown]
	v_sub_f16_e32 v18, v18, v16
	v_add_f16_e32 v42, v17, v15
	v_sub_f16_e32 v15, v15, v31
	v_fma_f16 v33, v33, -0.5, v36
	v_fma_f16 v17, v43, -0.5, v17
	;; [unrolled: 1-line block ×3, first 2 shown]
	v_add_f16_e32 v16, v38, v16
	v_fma_f16 v30, v39, -0.5, v30
	v_add_f16_e32 v35, v41, v35
	v_add_f16_e32 v31, v42, v31
	;; [unrolled: 1-line block ×3, first 2 shown]
	v_fma_f16 v37, v18, s9, v33
	v_fma_f16 v18, v18, s8, v33
	;; [unrolled: 1-line block ×8, first 2 shown]
	v_add_f16_e32 v32, v16, v31
	v_add_f16_e32 v39, v35, v36
	v_sub_f16_e32 v16, v16, v31
	v_sub_f16_e32 v31, v35, v36
	v_mul_f16_e32 v35, 0x3aee, v38
	v_mul_f16_e32 v40, 0xbaee, v33
	v_mul_f16_e32 v36, -0.5, v17
	v_mul_f16_e32 v41, -0.5, v15
	v_pack_b32_f16 v16, v16, v31
	v_fma_f16 v31, v33, 0.5, v35
	v_fma_f16 v33, v38, 0.5, v40
	v_fma_f16 v15, v15, s8, v36
	v_fma_f16 v17, v17, s9, v41
	v_add_f16_e32 v35, v34, v31
	v_add_f16_e32 v38, v37, v33
	v_pack_b32_f16 v32, v32, v39
	v_add_f16_e32 v36, v30, v15
	v_add_f16_e32 v39, v18, v17
	v_sub_f16_e32 v31, v34, v31
	v_sub_f16_e32 v15, v30, v15
	;; [unrolled: 1-line block ×4, first 2 shown]
	v_pack_b32_f16 v18, v35, v38
	v_pack_b32_f16 v33, v36, v39
	;; [unrolled: 1-line block ×4, first 2 shown]
	ds_write2_b32 v9, v32, v18 offset1:14
	ds_write2_b32 v9, v33, v16 offset0:28 offset1:42
	ds_write2_b32 v9, v30, v15 offset0:56 offset1:70
	s_and_saveexec_b64 s[6:7], s[2:3]
	s_cbranch_execz .LBB0_20
; %bb.19:
	v_add_u32_e32 v15, -2, v5
	v_cndmask_b32_e64 v15, v15, v8, s[2:3]
	v_mul_i32_i24_e32 v15, 5, v15
	v_mov_b32_e32 v16, 0
	v_lshlrev_b64 v[15:16], 2, v[15:16]
	v_mov_b32_e32 v17, s13
	v_add_co_u32_e64 v30, s[2:3], s12, v15
	v_addc_co_u32_e64 v31, s[2:3], v17, v16, s[2:3]
	global_load_dwordx4 v[15:18], v[30:31], off offset:28
	global_load_dword v32, v[30:31], off offset:44
	s_waitcnt vmcnt(1)
	v_mul_f16_sdwa v36, v27, v17 dst_sel:DWORD dst_unused:UNUSED_PAD src0_sel:DWORD src1_sel:WORD_1
	s_waitcnt vmcnt(0)
	v_mul_f16_sdwa v37, v26, v32 dst_sel:DWORD dst_unused:UNUSED_PAD src0_sel:DWORD src1_sel:WORD_1
	v_mul_f16_sdwa v38, v13, v17 dst_sel:DWORD dst_unused:UNUSED_PAD src0_sel:DWORD src1_sel:WORD_1
	;; [unrolled: 1-line block ×9, first 2 shown]
	v_fma_f16 v13, v13, v17, -v36
	v_fma_f16 v25, v25, v32, -v37
	v_fma_f16 v17, v27, v17, v38
	v_fma_f16 v26, v26, v32, v39
	v_fma_f16 v12, v12, v16, -v30
	v_fma_f16 v14, v14, v18, -v31
	v_fma_f16 v16, v29, v16, v33
	v_fma_f16 v18, v28, v18, v34
	v_fma_f16 v11, v11, v15, -v35
	v_fma_f16 v15, v24, v15, v40
	v_add_f16_e32 v28, v13, v25
	v_add_f16_e32 v31, v17, v26
	v_sub_f16_e32 v24, v12, v14
	v_add_f16_e32 v27, v16, v18
	v_sub_f16_e32 v29, v17, v26
	v_sub_f16_e32 v30, v13, v25
	v_add_f16_e32 v32, v23, v16
	v_add_f16_e32 v17, v15, v17
	;; [unrolled: 1-line block ×5, first 2 shown]
	v_fma_f16 v11, v28, -0.5, v11
	v_fma_f16 v15, v31, -0.5, v15
	v_sub_f16_e32 v16, v16, v18
	v_fma_f16 v23, v27, -0.5, v23
	v_add_f16_e32 v18, v32, v18
	v_add_f16_e32 v17, v17, v26
	v_fma_f16 v22, v33, -0.5, v22
	v_add_f16_e32 v12, v12, v14
	v_add_f16_e32 v13, v13, v25
	v_fma_f16 v25, v29, s9, v11
	v_fma_f16 v26, v30, s8, v15
	;; [unrolled: 1-line block ×6, first 2 shown]
	v_sub_f16_e32 v24, v18, v17
	v_fma_f16 v27, v16, s9, v22
	v_fma_f16 v16, v16, s8, v22
	v_sub_f16_e32 v22, v12, v13
	v_add_f16_e32 v17, v18, v17
	v_add_f16_e32 v12, v12, v13
	v_mul_f16_e32 v13, -0.5, v26
	v_mul_f16_e32 v18, 0xbaee, v11
	v_mul_f16_e32 v29, 0x3aee, v15
	v_mul_f16_e32 v28, -0.5, v25
	v_fma_f16 v13, v25, s9, v13
	v_fma_f16 v15, v15, 0.5, v18
	v_fma_f16 v11, v11, 0.5, v29
	v_pack_b32_f16 v12, v12, v17
	v_pack_b32_f16 v17, v22, v24
	v_fma_f16 v18, v26, s8, v28
	v_sub_f16_e32 v22, v14, v13
	v_sub_f16_e32 v26, v16, v11
	v_add_f16_e32 v13, v14, v13
	v_add_f16_e32 v14, v23, v15
	;; [unrolled: 1-line block ×3, first 2 shown]
	v_sub_f16_e32 v24, v23, v15
	v_sub_f16_e32 v25, v27, v18
	v_add_f16_e32 v15, v27, v18
	v_pack_b32_f16 v11, v11, v14
	v_pack_b32_f16 v13, v15, v13
	;; [unrolled: 1-line block ×4, first 2 shown]
	ds_write2_b32 v9, v12, v11 offset0:12 offset1:26
	ds_write2_b32 v9, v13, v17 offset0:40 offset1:54
	;; [unrolled: 1-line block ×3, first 2 shown]
.LBB0_20:
	s_or_b64 exec, exec, s[6:7]
	s_waitcnt lgkmcnt(0)
	s_barrier
	ds_read_b32 v9, v19
	v_sub_u32_e32 v12, v0, v6
	v_cmp_ne_u32_e64 s[2:3], 0, v5
                                        ; implicit-def: $vgpr14
                                        ; implicit-def: $vgpr6
                                        ; implicit-def: $vgpr13
	s_and_saveexec_b64 s[6:7], s[2:3]
	s_xor_b64 s[6:7], exec, s[6:7]
	s_cbranch_execz .LBB0_22
; %bb.21:
	v_mov_b32_e32 v6, 0
	v_lshlrev_b64 v[13:14], 2, v[5:6]
	v_mov_b32_e32 v6, s13
	v_add_co_u32_e64 v13, s[2:3], s12, v13
	v_addc_co_u32_e64 v14, s[2:3], v6, v14, s[2:3]
	global_load_dword v11, v[13:14], off offset:308
	ds_read_b32 v6, v12 offset:336
	s_waitcnt lgkmcnt(0)
	v_add_f16_sdwa v13, v6, v9 dst_sel:DWORD dst_unused:UNUSED_PAD src0_sel:WORD_1 src1_sel:WORD_1
	v_sub_f16_e32 v15, v9, v6
	v_add_f16_e32 v14, v6, v9
	v_sub_f16_sdwa v6, v9, v6 dst_sel:DWORD dst_unused:UNUSED_PAD src0_sel:WORD_1 src1_sel:WORD_1
	v_mul_f16_e32 v9, 0.5, v13
	v_mul_f16_e32 v15, 0.5, v15
	;; [unrolled: 1-line block ×3, first 2 shown]
	s_waitcnt vmcnt(0)
	v_lshrrev_b32_e32 v13, 16, v11
	v_mul_f16_e32 v16, v13, v15
	v_fma_f16 v17, v9, v13, v6
	v_fma_f16 v18, v9, v13, -v6
	v_fma_f16 v6, v14, 0.5, v16
	v_fma_f16 v14, v14, 0.5, -v16
	v_fma_f16 v16, v11, v9, v6
	v_fma_f16 v13, -v11, v15, v17
	v_fma_f16 v6, -v11, v9, v14
	ds_write_b16 v19, v16
	v_fma_f16 v14, -v11, v15, v18
                                        ; implicit-def: $vgpr9
.LBB0_22:
	s_andn2_saveexec_b64 s[2:3], s[6:7]
	s_cbranch_execz .LBB0_24
; %bb.23:
	ds_read_u16 v11, v0 offset:170
	s_waitcnt lgkmcnt(1)
	v_add_f16_sdwa v14, v9, v9 dst_sel:DWORD dst_unused:UNUSED_PAD src0_sel:WORD_1 src1_sel:DWORD
	v_sub_f16_sdwa v6, v9, v9 dst_sel:DWORD dst_unused:UNUSED_PAD src0_sel:DWORD src1_sel:WORD_1
	v_mov_b32_e32 v13, 0
	ds_write_b16 v19, v14
	s_waitcnt lgkmcnt(1)
	v_xor_b32_e32 v9, 0x8000, v11
	v_mov_b32_e32 v14, 0
	ds_write_b16 v0, v9 offset:170
.LBB0_24:
	s_or_b64 exec, exec, s[2:3]
	s_waitcnt lgkmcnt(0)
	v_mov_b32_e32 v9, 0
	v_lshlrev_b64 v[15:16], 2, v[8:9]
	v_mov_b32_e32 v8, s13
	v_add_co_u32_e64 v15, s[2:3], s12, v15
	v_addc_co_u32_e64 v16, s[2:3], v8, v16, s[2:3]
	global_load_dword v15, v[15:16], off offset:308
	v_mov_b32_e32 v11, v9
	v_lshlrev_b64 v[10:11], 2, v[10:11]
	ds_write_b16 v19, v13 offset:2
	v_add_co_u32_e64 v10, s[2:3], s12, v10
	v_addc_co_u32_e64 v11, s[2:3], v8, v11, s[2:3]
	global_load_dword v8, v[10:11], off offset:308
	s_mov_b32 s2, 0x5040100
	v_perm_b32 v6, v14, v6, s2
	ds_write_b32 v12, v6 offset:336
	ds_read_b32 v6, v21
	ds_read_b32 v10, v12 offset:288
	s_mov_b32 s6, 0xffff
	s_waitcnt lgkmcnt(0)
	v_pk_add_f16 v11, v6, v10 neg_lo:[0,1] neg_hi:[0,1]
	v_pk_add_f16 v6, v6, v10
	v_bfi_b32 v10, s6, v11, v6
	v_bfi_b32 v6, s6, v6, v11
	v_pk_mul_f16 v10, v10, 0.5 op_sel_hi:[1,0]
	v_pk_mul_f16 v6, v6, 0.5 op_sel_hi:[1,0]
	s_waitcnt vmcnt(1)
	v_pk_fma_f16 v11, v15, v10, v6 op_sel:[1,0,0]
	v_pk_mul_f16 v13, v15, v10 op_sel_hi:[0,1]
	v_pk_fma_f16 v14, v15, v10, v6 op_sel:[1,0,0] neg_lo:[1,0,0] neg_hi:[1,0,0]
	v_pk_fma_f16 v6, v15, v10, v6 op_sel:[1,0,0] neg_lo:[0,0,1] neg_hi:[0,0,1]
	v_pk_add_f16 v10, v11, v13 op_sel:[0,1] op_sel_hi:[1,0]
	v_pk_add_f16 v11, v11, v13 op_sel:[0,1] op_sel_hi:[1,0] neg_lo:[0,1] neg_hi:[0,1]
	v_pk_add_f16 v14, v14, v13 op_sel:[0,1] op_sel_hi:[1,0] neg_lo:[0,1] neg_hi:[0,1]
	;; [unrolled: 1-line block ×3, first 2 shown]
	v_bfi_b32 v10, s6, v10, v11
	v_bfi_b32 v6, s6, v14, v6
	ds_write_b32 v21, v10
	ds_write_b32 v12, v6 offset:288
	ds_read_b32 v6, v20
	ds_read_b32 v10, v12 offset:240
	s_waitcnt lgkmcnt(0)
	v_pk_add_f16 v11, v6, v10 neg_lo:[0,1] neg_hi:[0,1]
	v_pk_add_f16 v6, v6, v10
	v_bfi_b32 v10, s6, v11, v6
	v_bfi_b32 v6, s6, v6, v11
	v_pk_mul_f16 v10, v10, 0.5 op_sel_hi:[1,0]
	v_pk_mul_f16 v6, v6, 0.5 op_sel_hi:[1,0]
	s_waitcnt vmcnt(0)
	v_pk_fma_f16 v11, v8, v10, v6 op_sel:[1,0,0]
	v_pk_mul_f16 v13, v8, v10 op_sel_hi:[0,1]
	v_pk_fma_f16 v14, v8, v10, v6 op_sel:[1,0,0] neg_lo:[1,0,0] neg_hi:[1,0,0]
	v_pk_fma_f16 v6, v8, v10, v6 op_sel:[1,0,0] neg_lo:[0,0,1] neg_hi:[0,0,1]
	v_pk_add_f16 v8, v11, v13 op_sel:[0,1] op_sel_hi:[1,0]
	v_pk_add_f16 v10, v11, v13 op_sel:[0,1] op_sel_hi:[1,0] neg_lo:[0,1] neg_hi:[0,1]
	v_pk_add_f16 v11, v14, v13 op_sel:[0,1] op_sel_hi:[1,0] neg_lo:[0,1] neg_hi:[0,1]
	;; [unrolled: 1-line block ×3, first 2 shown]
	v_bfi_b32 v8, s6, v8, v10
	v_bfi_b32 v6, s6, v11, v6
	ds_write_b32 v20, v8
	ds_write_b32 v12, v6 offset:240
	s_and_saveexec_b64 s[2:3], s[0:1]
	s_cbranch_execz .LBB0_26
; %bb.25:
	v_mov_b32_e32 v8, v9
	v_lshlrev_b64 v[8:9], 2, v[7:8]
	v_mov_b32_e32 v6, s13
	v_add_co_u32_e64 v8, s[0:1], s12, v8
	v_addc_co_u32_e64 v9, s[0:1], v6, v9, s[0:1]
	global_load_dword v6, v[8:9], off offset:308
	v_lshl_add_u32 v7, v7, 2, v0
	ds_read_b32 v8, v7
	ds_read_b32 v9, v12 offset:192
	s_waitcnt lgkmcnt(0)
	v_pk_add_f16 v10, v8, v9 neg_lo:[0,1] neg_hi:[0,1]
	v_pk_add_f16 v8, v8, v9
	v_bfi_b32 v9, s6, v10, v8
	v_bfi_b32 v8, s6, v8, v10
	v_pk_mul_f16 v9, v9, 0.5 op_sel_hi:[1,0]
	v_pk_mul_f16 v8, v8, 0.5 op_sel_hi:[1,0]
	s_waitcnt vmcnt(0)
	v_pk_fma_f16 v10, v6, v9, v8 op_sel:[1,0,0]
	v_pk_mul_f16 v11, v6, v9 op_sel_hi:[0,1]
	v_pk_fma_f16 v13, v6, v9, v8 op_sel:[1,0,0] neg_lo:[1,0,0] neg_hi:[1,0,0]
	v_pk_fma_f16 v6, v6, v9, v8 op_sel:[1,0,0] neg_lo:[0,0,1] neg_hi:[0,0,1]
	v_pk_add_f16 v8, v10, v11 op_sel:[0,1] op_sel_hi:[1,0]
	v_pk_add_f16 v9, v10, v11 op_sel:[0,1] op_sel_hi:[1,0] neg_lo:[0,1] neg_hi:[0,1]
	v_pk_add_f16 v10, v13, v11 op_sel:[0,1] op_sel_hi:[1,0] neg_lo:[0,1] neg_hi:[0,1]
	;; [unrolled: 1-line block ×3, first 2 shown]
	v_bfi_b32 v8, s6, v8, v9
	v_bfi_b32 v6, s6, v10, v6
	ds_write_b32 v7, v8
	ds_write_b32 v12, v6 offset:192
.LBB0_26:
	s_or_b64 exec, exec, s[2:3]
	s_waitcnt lgkmcnt(0)
	s_barrier
	s_and_saveexec_b64 s[0:1], vcc
	s_cbranch_execz .LBB0_29
; %bb.27:
	v_mul_lo_u32 v6, s5, v3
	v_mul_lo_u32 v4, s4, v4
	v_mad_u64_u32 v[7:8], s[0:1], s4, v3, 0
	v_lshl_add_u32 v3, v5, 2, v0
	v_mov_b32_e32 v0, s11
	v_add3_u32 v8, v8, v4, v6
	v_lshlrev_b64 v[7:8], 2, v[7:8]
	v_mov_b32_e32 v6, 0
	v_add_co_u32_e32 v4, vcc, s10, v7
	v_addc_co_u32_e32 v7, vcc, v0, v8, vcc
	v_lshlrev_b64 v[0:1], 2, v[1:2]
	ds_read2_b32 v[9:10], v3 offset1:12
	v_add_co_u32_e32 v0, vcc, v4, v0
	v_addc_co_u32_e32 v1, vcc, v7, v1, vcc
	v_lshlrev_b64 v[7:8], 2, v[5:6]
	ds_read_b32 v2, v3 offset:288
	v_add_co_u32_e32 v7, vcc, v0, v7
	v_addc_co_u32_e32 v8, vcc, v1, v8, vcc
	s_waitcnt lgkmcnt(1)
	global_store_dword v[7:8], v9, off
	v_add_u32_e32 v7, 12, v5
	v_mov_b32_e32 v8, v6
	v_lshlrev_b64 v[7:8], 2, v[7:8]
	v_add_co_u32_e32 v7, vcc, v0, v7
	v_addc_co_u32_e32 v8, vcc, v1, v8, vcc
	global_store_dword v[7:8], v10, off
	v_add_u32_e32 v7, 24, v5
	v_mov_b32_e32 v8, v6
	ds_read2_b32 v[9:10], v3 offset0:24 offset1:36
	v_lshlrev_b64 v[7:8], 2, v[7:8]
	v_add_co_u32_e32 v7, vcc, v0, v7
	v_addc_co_u32_e32 v8, vcc, v1, v8, vcc
	s_waitcnt lgkmcnt(0)
	global_store_dword v[7:8], v9, off
	v_add_u32_e32 v7, 36, v5
	v_mov_b32_e32 v8, v6
	v_lshlrev_b64 v[7:8], 2, v[7:8]
	v_add_co_u32_e32 v7, vcc, v0, v7
	v_addc_co_u32_e32 v8, vcc, v1, v8, vcc
	global_store_dword v[7:8], v10, off
	v_add_u32_e32 v7, 48, v5
	v_mov_b32_e32 v8, v6
	ds_read2_b32 v[9:10], v3 offset0:48 offset1:60
	v_lshlrev_b64 v[7:8], 2, v[7:8]
	v_add_co_u32_e32 v7, vcc, v0, v7
	v_addc_co_u32_e32 v8, vcc, v1, v8, vcc
	s_waitcnt lgkmcnt(0)
	global_store_dword v[7:8], v9, off
	v_add_u32_e32 v7, 60, v5
	v_mov_b32_e32 v8, v6
	v_lshlrev_b64 v[7:8], 2, v[7:8]
	v_add_co_u32_e32 v7, vcc, v0, v7
	v_addc_co_u32_e32 v8, vcc, v1, v8, vcc
	global_store_dword v[7:8], v10, off
	v_add_u32_e32 v7, 0x48, v5
	v_mov_b32_e32 v8, v6
	v_lshlrev_b64 v[6:7], 2, v[7:8]
	v_add_co_u32_e32 v6, vcc, v0, v6
	v_addc_co_u32_e32 v7, vcc, v1, v7, vcc
	v_cmp_eq_u32_e32 vcc, 11, v5
	global_store_dword v[6:7], v2, off
	s_and_b64 exec, exec, vcc
	s_cbranch_execz .LBB0_29
; %bb.28:
	ds_read_b32 v2, v3 offset:292
	s_waitcnt lgkmcnt(0)
	global_store_dword v[0:1], v2, off offset:336
.LBB0_29:
	s_endpgm
	.section	.rodata,"a",@progbits
	.p2align	6, 0x0
	.amdhsa_kernel fft_rtc_fwd_len84_factors_7_2_6_wgs_120_tpt_12_halfLds_half_op_CI_CI_unitstride_sbrr_R2C_dirReg
		.amdhsa_group_segment_fixed_size 0
		.amdhsa_private_segment_fixed_size 0
		.amdhsa_kernarg_size 104
		.amdhsa_user_sgpr_count 6
		.amdhsa_user_sgpr_private_segment_buffer 1
		.amdhsa_user_sgpr_dispatch_ptr 0
		.amdhsa_user_sgpr_queue_ptr 0
		.amdhsa_user_sgpr_kernarg_segment_ptr 1
		.amdhsa_user_sgpr_dispatch_id 0
		.amdhsa_user_sgpr_flat_scratch_init 0
		.amdhsa_user_sgpr_private_segment_size 0
		.amdhsa_uses_dynamic_stack 0
		.amdhsa_system_sgpr_private_segment_wavefront_offset 0
		.amdhsa_system_sgpr_workgroup_id_x 1
		.amdhsa_system_sgpr_workgroup_id_y 0
		.amdhsa_system_sgpr_workgroup_id_z 0
		.amdhsa_system_sgpr_workgroup_info 0
		.amdhsa_system_vgpr_workitem_id 0
		.amdhsa_next_free_vgpr 53
		.amdhsa_next_free_sgpr 28
		.amdhsa_reserve_vcc 1
		.amdhsa_reserve_flat_scratch 0
		.amdhsa_float_round_mode_32 0
		.amdhsa_float_round_mode_16_64 0
		.amdhsa_float_denorm_mode_32 3
		.amdhsa_float_denorm_mode_16_64 3
		.amdhsa_dx10_clamp 1
		.amdhsa_ieee_mode 1
		.amdhsa_fp16_overflow 0
		.amdhsa_exception_fp_ieee_invalid_op 0
		.amdhsa_exception_fp_denorm_src 0
		.amdhsa_exception_fp_ieee_div_zero 0
		.amdhsa_exception_fp_ieee_overflow 0
		.amdhsa_exception_fp_ieee_underflow 0
		.amdhsa_exception_fp_ieee_inexact 0
		.amdhsa_exception_int_div_zero 0
	.end_amdhsa_kernel
	.text
.Lfunc_end0:
	.size	fft_rtc_fwd_len84_factors_7_2_6_wgs_120_tpt_12_halfLds_half_op_CI_CI_unitstride_sbrr_R2C_dirReg, .Lfunc_end0-fft_rtc_fwd_len84_factors_7_2_6_wgs_120_tpt_12_halfLds_half_op_CI_CI_unitstride_sbrr_R2C_dirReg
                                        ; -- End function
	.section	.AMDGPU.csdata,"",@progbits
; Kernel info:
; codeLenInByte = 5436
; NumSgprs: 32
; NumVgprs: 53
; ScratchSize: 0
; MemoryBound: 0
; FloatMode: 240
; IeeeMode: 1
; LDSByteSize: 0 bytes/workgroup (compile time only)
; SGPRBlocks: 3
; VGPRBlocks: 13
; NumSGPRsForWavesPerEU: 32
; NumVGPRsForWavesPerEU: 53
; Occupancy: 4
; WaveLimiterHint : 1
; COMPUTE_PGM_RSRC2:SCRATCH_EN: 0
; COMPUTE_PGM_RSRC2:USER_SGPR: 6
; COMPUTE_PGM_RSRC2:TRAP_HANDLER: 0
; COMPUTE_PGM_RSRC2:TGID_X_EN: 1
; COMPUTE_PGM_RSRC2:TGID_Y_EN: 0
; COMPUTE_PGM_RSRC2:TGID_Z_EN: 0
; COMPUTE_PGM_RSRC2:TIDIG_COMP_CNT: 0
	.type	__hip_cuid_ef54e1547d072f2e,@object ; @__hip_cuid_ef54e1547d072f2e
	.section	.bss,"aw",@nobits
	.globl	__hip_cuid_ef54e1547d072f2e
__hip_cuid_ef54e1547d072f2e:
	.byte	0                               ; 0x0
	.size	__hip_cuid_ef54e1547d072f2e, 1

	.ident	"AMD clang version 19.0.0git (https://github.com/RadeonOpenCompute/llvm-project roc-6.4.0 25133 c7fe45cf4b819c5991fe208aaa96edf142730f1d)"
	.section	".note.GNU-stack","",@progbits
	.addrsig
	.addrsig_sym __hip_cuid_ef54e1547d072f2e
	.amdgpu_metadata
---
amdhsa.kernels:
  - .args:
      - .actual_access:  read_only
        .address_space:  global
        .offset:         0
        .size:           8
        .value_kind:     global_buffer
      - .offset:         8
        .size:           8
        .value_kind:     by_value
      - .actual_access:  read_only
        .address_space:  global
        .offset:         16
        .size:           8
        .value_kind:     global_buffer
      - .actual_access:  read_only
        .address_space:  global
        .offset:         24
        .size:           8
        .value_kind:     global_buffer
      - .actual_access:  read_only
        .address_space:  global
        .offset:         32
        .size:           8
        .value_kind:     global_buffer
      - .offset:         40
        .size:           8
        .value_kind:     by_value
      - .actual_access:  read_only
        .address_space:  global
        .offset:         48
        .size:           8
        .value_kind:     global_buffer
      - .actual_access:  read_only
        .address_space:  global
        .offset:         56
        .size:           8
        .value_kind:     global_buffer
      - .offset:         64
        .size:           4
        .value_kind:     by_value
      - .actual_access:  read_only
        .address_space:  global
        .offset:         72
        .size:           8
        .value_kind:     global_buffer
      - .actual_access:  read_only
        .address_space:  global
        .offset:         80
        .size:           8
        .value_kind:     global_buffer
      - .actual_access:  read_only
        .address_space:  global
        .offset:         88
        .size:           8
        .value_kind:     global_buffer
      - .actual_access:  write_only
        .address_space:  global
        .offset:         96
        .size:           8
        .value_kind:     global_buffer
    .group_segment_fixed_size: 0
    .kernarg_segment_align: 8
    .kernarg_segment_size: 104
    .language:       OpenCL C
    .language_version:
      - 2
      - 0
    .max_flat_workgroup_size: 120
    .name:           fft_rtc_fwd_len84_factors_7_2_6_wgs_120_tpt_12_halfLds_half_op_CI_CI_unitstride_sbrr_R2C_dirReg
    .private_segment_fixed_size: 0
    .sgpr_count:     32
    .sgpr_spill_count: 0
    .symbol:         fft_rtc_fwd_len84_factors_7_2_6_wgs_120_tpt_12_halfLds_half_op_CI_CI_unitstride_sbrr_R2C_dirReg.kd
    .uniform_work_group_size: 1
    .uses_dynamic_stack: false
    .vgpr_count:     53
    .vgpr_spill_count: 0
    .wavefront_size: 64
amdhsa.target:   amdgcn-amd-amdhsa--gfx906
amdhsa.version:
  - 1
  - 2
...

	.end_amdgpu_metadata
